;; amdgpu-corpus repo=ROCm/rocFFT kind=compiled arch=gfx906 opt=O3
	.text
	.amdgcn_target "amdgcn-amd-amdhsa--gfx906"
	.amdhsa_code_object_version 6
	.protected	fft_rtc_fwd_len2400_factors_4_10_10_6_wgs_240_tpt_240_halfLds_half_op_CI_CI_sbrr_dirReg ; -- Begin function fft_rtc_fwd_len2400_factors_4_10_10_6_wgs_240_tpt_240_halfLds_half_op_CI_CI_sbrr_dirReg
	.globl	fft_rtc_fwd_len2400_factors_4_10_10_6_wgs_240_tpt_240_halfLds_half_op_CI_CI_sbrr_dirReg
	.p2align	8
	.type	fft_rtc_fwd_len2400_factors_4_10_10_6_wgs_240_tpt_240_halfLds_half_op_CI_CI_sbrr_dirReg,@function
fft_rtc_fwd_len2400_factors_4_10_10_6_wgs_240_tpt_240_halfLds_half_op_CI_CI_sbrr_dirReg: ; @fft_rtc_fwd_len2400_factors_4_10_10_6_wgs_240_tpt_240_halfLds_half_op_CI_CI_sbrr_dirReg
; %bb.0:
	s_load_dwordx4 s[16:19], s[4:5], 0x18
	s_load_dwordx4 s[8:11], s[4:5], 0x0
	;; [unrolled: 1-line block ×3, first 2 shown]
	v_mul_u32_u24_e32 v1, 0x112, v0
	v_mov_b32_e32 v7, 0
	s_waitcnt lgkmcnt(0)
	s_load_dwordx2 s[20:21], s[16:17], 0x0
	s_load_dwordx2 s[2:3], s[18:19], 0x0
	v_cmp_lt_u64_e64 s[0:1], s[10:11], 2
	v_mov_b32_e32 v5, 0
	v_add_u32_sdwa v9, s6, v1 dst_sel:DWORD dst_unused:UNUSED_PAD src0_sel:DWORD src1_sel:WORD_1
	v_mov_b32_e32 v10, v7
	s_and_b64 vcc, exec, s[0:1]
	v_mov_b32_e32 v6, 0
	s_cbranch_vccnz .LBB0_8
; %bb.1:
	s_load_dwordx2 s[0:1], s[4:5], 0x10
	s_add_u32 s6, s18, 8
	s_addc_u32 s7, s19, 0
	s_add_u32 s22, s16, 8
	s_addc_u32 s23, s17, 0
	v_mov_b32_e32 v5, 0
	s_waitcnt lgkmcnt(0)
	s_add_u32 s24, s0, 8
	v_mov_b32_e32 v6, 0
	v_mov_b32_e32 v1, v5
	s_addc_u32 s25, s1, 0
	s_mov_b64 s[26:27], 1
	v_mov_b32_e32 v2, v6
.LBB0_2:                                ; =>This Inner Loop Header: Depth=1
	s_load_dwordx2 s[28:29], s[24:25], 0x0
                                        ; implicit-def: $vgpr3_vgpr4
	s_waitcnt lgkmcnt(0)
	v_or_b32_e32 v8, s29, v10
	v_cmp_ne_u64_e32 vcc, 0, v[7:8]
	s_and_saveexec_b64 s[0:1], vcc
	s_xor_b64 s[30:31], exec, s[0:1]
	s_cbranch_execz .LBB0_4
; %bb.3:                                ;   in Loop: Header=BB0_2 Depth=1
	v_cvt_f32_u32_e32 v3, s28
	v_cvt_f32_u32_e32 v4, s29
	s_sub_u32 s0, 0, s28
	s_subb_u32 s1, 0, s29
	v_mac_f32_e32 v3, 0x4f800000, v4
	v_rcp_f32_e32 v3, v3
	v_mul_f32_e32 v3, 0x5f7ffffc, v3
	v_mul_f32_e32 v4, 0x2f800000, v3
	v_trunc_f32_e32 v4, v4
	v_mac_f32_e32 v3, 0xcf800000, v4
	v_cvt_u32_f32_e32 v4, v4
	v_cvt_u32_f32_e32 v3, v3
	v_mul_lo_u32 v8, s0, v4
	v_mul_hi_u32 v11, s0, v3
	v_mul_lo_u32 v13, s1, v3
	v_mul_lo_u32 v12, s0, v3
	v_add_u32_e32 v8, v11, v8
	v_add_u32_e32 v8, v8, v13
	v_mul_hi_u32 v11, v3, v12
	v_mul_lo_u32 v13, v3, v8
	v_mul_hi_u32 v15, v3, v8
	v_mul_hi_u32 v14, v4, v12
	v_mul_lo_u32 v12, v4, v12
	v_mul_hi_u32 v16, v4, v8
	v_add_co_u32_e32 v11, vcc, v11, v13
	v_addc_co_u32_e32 v13, vcc, 0, v15, vcc
	v_mul_lo_u32 v8, v4, v8
	v_add_co_u32_e32 v11, vcc, v11, v12
	v_addc_co_u32_e32 v11, vcc, v13, v14, vcc
	v_addc_co_u32_e32 v12, vcc, 0, v16, vcc
	v_add_co_u32_e32 v8, vcc, v11, v8
	v_addc_co_u32_e32 v11, vcc, 0, v12, vcc
	v_add_co_u32_e32 v3, vcc, v3, v8
	v_addc_co_u32_e32 v4, vcc, v4, v11, vcc
	v_mul_lo_u32 v8, s0, v4
	v_mul_hi_u32 v11, s0, v3
	v_mul_lo_u32 v12, s1, v3
	v_mul_lo_u32 v13, s0, v3
	v_add_u32_e32 v8, v11, v8
	v_add_u32_e32 v8, v8, v12
	v_mul_lo_u32 v14, v3, v8
	v_mul_hi_u32 v15, v3, v13
	v_mul_hi_u32 v16, v3, v8
	;; [unrolled: 1-line block ×3, first 2 shown]
	v_mul_lo_u32 v13, v4, v13
	v_mul_hi_u32 v11, v4, v8
	v_add_co_u32_e32 v14, vcc, v15, v14
	v_addc_co_u32_e32 v15, vcc, 0, v16, vcc
	v_mul_lo_u32 v8, v4, v8
	v_add_co_u32_e32 v13, vcc, v14, v13
	v_addc_co_u32_e32 v12, vcc, v15, v12, vcc
	v_addc_co_u32_e32 v11, vcc, 0, v11, vcc
	v_add_co_u32_e32 v8, vcc, v12, v8
	v_addc_co_u32_e32 v11, vcc, 0, v11, vcc
	v_add_co_u32_e32 v8, vcc, v3, v8
	v_addc_co_u32_e32 v11, vcc, v4, v11, vcc
	v_mad_u64_u32 v[3:4], s[0:1], v9, v11, 0
	v_mul_hi_u32 v12, v9, v8
	v_add_co_u32_e32 v13, vcc, v12, v3
	v_addc_co_u32_e32 v14, vcc, 0, v4, vcc
	v_mad_u64_u32 v[3:4], s[0:1], v10, v8, 0
	v_mad_u64_u32 v[11:12], s[0:1], v10, v11, 0
	v_add_co_u32_e32 v3, vcc, v13, v3
	v_addc_co_u32_e32 v3, vcc, v14, v4, vcc
	v_addc_co_u32_e32 v4, vcc, 0, v12, vcc
	v_add_co_u32_e32 v8, vcc, v3, v11
	v_addc_co_u32_e32 v11, vcc, 0, v4, vcc
	v_mul_lo_u32 v12, s29, v8
	v_mul_lo_u32 v13, s28, v11
	v_mad_u64_u32 v[3:4], s[0:1], s28, v8, 0
	v_add3_u32 v4, v4, v13, v12
	v_sub_u32_e32 v12, v10, v4
	v_mov_b32_e32 v13, s29
	v_sub_co_u32_e32 v3, vcc, v9, v3
	v_subb_co_u32_e64 v12, s[0:1], v12, v13, vcc
	v_subrev_co_u32_e64 v13, s[0:1], s28, v3
	v_subbrev_co_u32_e64 v12, s[0:1], 0, v12, s[0:1]
	v_cmp_le_u32_e64 s[0:1], s29, v12
	v_cndmask_b32_e64 v14, 0, -1, s[0:1]
	v_cmp_le_u32_e64 s[0:1], s28, v13
	v_cndmask_b32_e64 v13, 0, -1, s[0:1]
	v_cmp_eq_u32_e64 s[0:1], s29, v12
	v_cndmask_b32_e64 v12, v14, v13, s[0:1]
	v_add_co_u32_e64 v13, s[0:1], 2, v8
	v_addc_co_u32_e64 v14, s[0:1], 0, v11, s[0:1]
	v_add_co_u32_e64 v15, s[0:1], 1, v8
	v_addc_co_u32_e64 v16, s[0:1], 0, v11, s[0:1]
	v_subb_co_u32_e32 v4, vcc, v10, v4, vcc
	v_cmp_ne_u32_e64 s[0:1], 0, v12
	v_cmp_le_u32_e32 vcc, s29, v4
	v_cndmask_b32_e64 v12, v16, v14, s[0:1]
	v_cndmask_b32_e64 v14, 0, -1, vcc
	v_cmp_le_u32_e32 vcc, s28, v3
	v_cndmask_b32_e64 v3, 0, -1, vcc
	v_cmp_eq_u32_e32 vcc, s29, v4
	v_cndmask_b32_e32 v3, v14, v3, vcc
	v_cmp_ne_u32_e32 vcc, 0, v3
	v_cndmask_b32_e64 v3, v15, v13, s[0:1]
	v_cndmask_b32_e32 v4, v11, v12, vcc
	v_cndmask_b32_e32 v3, v8, v3, vcc
.LBB0_4:                                ;   in Loop: Header=BB0_2 Depth=1
	s_andn2_saveexec_b64 s[0:1], s[30:31]
	s_cbranch_execz .LBB0_6
; %bb.5:                                ;   in Loop: Header=BB0_2 Depth=1
	v_cvt_f32_u32_e32 v3, s28
	s_sub_i32 s30, 0, s28
	v_rcp_iflag_f32_e32 v3, v3
	v_mul_f32_e32 v3, 0x4f7ffffe, v3
	v_cvt_u32_f32_e32 v3, v3
	v_mul_lo_u32 v4, s30, v3
	v_mul_hi_u32 v4, v3, v4
	v_add_u32_e32 v3, v3, v4
	v_mul_hi_u32 v3, v9, v3
	v_mul_lo_u32 v4, v3, s28
	v_add_u32_e32 v8, 1, v3
	v_sub_u32_e32 v4, v9, v4
	v_subrev_u32_e32 v11, s28, v4
	v_cmp_le_u32_e32 vcc, s28, v4
	v_cndmask_b32_e32 v4, v4, v11, vcc
	v_cndmask_b32_e32 v3, v3, v8, vcc
	v_add_u32_e32 v8, 1, v3
	v_cmp_le_u32_e32 vcc, s28, v4
	v_cndmask_b32_e32 v3, v3, v8, vcc
	v_mov_b32_e32 v4, v7
.LBB0_6:                                ;   in Loop: Header=BB0_2 Depth=1
	s_or_b64 exec, exec, s[0:1]
	v_mul_lo_u32 v8, v4, s28
	v_mul_lo_u32 v13, v3, s29
	v_mad_u64_u32 v[11:12], s[0:1], v3, s28, 0
	s_load_dwordx2 s[0:1], s[22:23], 0x0
	s_load_dwordx2 s[28:29], s[6:7], 0x0
	v_add3_u32 v8, v12, v13, v8
	v_sub_co_u32_e32 v9, vcc, v9, v11
	v_subb_co_u32_e32 v8, vcc, v10, v8, vcc
	s_waitcnt lgkmcnt(0)
	v_mul_lo_u32 v10, s0, v8
	v_mul_lo_u32 v11, s1, v9
	v_mad_u64_u32 v[5:6], s[0:1], s0, v9, v[5:6]
	v_mul_lo_u32 v8, s28, v8
	v_mul_lo_u32 v12, s29, v9
	v_mad_u64_u32 v[1:2], s[0:1], s28, v9, v[1:2]
	s_add_u32 s26, s26, 1
	s_addc_u32 s27, s27, 0
	s_add_u32 s6, s6, 8
	v_add3_u32 v2, v12, v2, v8
	s_addc_u32 s7, s7, 0
	v_mov_b32_e32 v8, s10
	s_add_u32 s22, s22, 8
	v_mov_b32_e32 v9, s11
	s_addc_u32 s23, s23, 0
	v_cmp_ge_u64_e32 vcc, s[26:27], v[8:9]
	s_add_u32 s24, s24, 8
	v_add3_u32 v6, v11, v6, v10
	s_addc_u32 s25, s25, 0
	s_cbranch_vccnz .LBB0_9
; %bb.7:                                ;   in Loop: Header=BB0_2 Depth=1
	v_mov_b32_e32 v10, v4
	v_mov_b32_e32 v9, v3
	s_branch .LBB0_2
.LBB0_8:
	v_mov_b32_e32 v1, v5
	v_mov_b32_e32 v3, v9
	;; [unrolled: 1-line block ×4, first 2 shown]
.LBB0_9:
	s_load_dwordx2 s[0:1], s[4:5], 0x28
	s_lshl_b64 s[10:11], s[10:11], 3
	s_add_u32 s4, s18, s10
	s_addc_u32 s5, s19, s11
                                        ; implicit-def: $sgpr18
                                        ; implicit-def: $vgpr7
                                        ; implicit-def: $vgpr8
	s_waitcnt lgkmcnt(0)
	v_cmp_gt_u64_e32 vcc, s[0:1], v[3:4]
	v_cmp_le_u64_e64 s[0:1], s[0:1], v[3:4]
	s_and_saveexec_b64 s[6:7], s[0:1]
	s_xor_b64 s[0:1], exec, s[6:7]
; %bb.10:
	s_mov_b32 s6, 0x1111112
	v_mul_hi_u32 v5, v0, s6
	s_mov_b32 s18, 0
	v_mul_u32_u24_e32 v5, 0xf0, v5
	v_sub_u32_e32 v7, v0, v5
	v_add_u32_e32 v8, 0xf0, v7
                                        ; implicit-def: $vgpr0
                                        ; implicit-def: $vgpr5_vgpr6
; %bb.11:
	s_or_saveexec_b64 s[6:7], s[0:1]
	s_load_dwordx2 s[4:5], s[4:5], 0x0
	v_mov_b32_e32 v17, s18
	v_mov_b32_e32 v22, s18
	;; [unrolled: 1-line block ×4, first 2 shown]
                                        ; implicit-def: $vgpr20
                                        ; implicit-def: $vgpr9
                                        ; implicit-def: $vgpr21
                                        ; implicit-def: $vgpr10
                                        ; implicit-def: $vgpr24
                                        ; implicit-def: $vgpr13
                                        ; implicit-def: $vgpr31
                                        ; implicit-def: $vgpr14
                                        ; implicit-def: $vgpr25
                                        ; implicit-def: $vgpr11
                                        ; implicit-def: $vgpr26
                                        ; implicit-def: $vgpr12
                                        ; implicit-def: $vgpr27
                                        ; implicit-def: $vgpr15
                                        ; implicit-def: $vgpr32
                                        ; implicit-def: $vgpr16
                                        ; implicit-def: $vgpr19
                                        ; implicit-def: $vgpr28
                                        ; implicit-def: $vgpr30
                                        ; implicit-def: $vgpr29
	s_xor_b64 exec, exec, s[6:7]
	s_cbranch_execz .LBB0_15
; %bb.12:
	s_add_u32 s0, s16, s10
	s_mov_b32 s10, 0x1111112
	v_mul_hi_u32 v7, v0, s10
	s_addc_u32 s1, s17, s11
	s_load_dwordx2 s[0:1], s[0:1], 0x0
	v_lshlrev_b64 v[5:6], 2, v[5:6]
	v_mul_u32_u24_e32 v7, 0xf0, v7
	v_sub_u32_e32 v7, v0, v7
	v_mad_u64_u32 v[8:9], s[10:11], s20, v7, 0
	s_waitcnt lgkmcnt(0)
	v_mul_lo_u32 v14, s1, v3
	v_mul_lo_u32 v15, s0, v4
	v_mad_u64_u32 v[10:11], s[0:1], s0, v3, 0
	v_mov_b32_e32 v0, v9
	v_mad_u64_u32 v[12:13], s[0:1], s21, v7, v[0:1]
	v_add3_u32 v11, v11, v15, v14
	v_lshlrev_b64 v[10:11], 2, v[10:11]
	v_mov_b32_e32 v9, v12
	v_mov_b32_e32 v0, s13
	v_add_co_u32_e64 v12, s[0:1], s12, v10
	v_add_u32_e32 v14, 0x258, v7
	v_addc_co_u32_e64 v13, s[0:1], v0, v11, s[0:1]
	v_mad_u64_u32 v[10:11], s[0:1], s20, v14, 0
	v_add_co_u32_e64 v0, s[0:1], v12, v5
	v_addc_co_u32_e64 v5, s[0:1], v13, v6, s[0:1]
	v_mov_b32_e32 v6, v11
	v_mad_u64_u32 v[11:12], s[0:1], s21, v14, v[6:7]
	v_add_u32_e32 v14, 0x4b0, v7
	v_mad_u64_u32 v[12:13], s[0:1], s20, v14, 0
	v_lshlrev_b64 v[8:9], 2, v[8:9]
	v_add_u32_e32 v16, 0x5a0, v7
	v_add_co_u32_e64 v17, s[0:1], v0, v8
	v_mov_b32_e32 v6, v13
	v_addc_co_u32_e64 v18, s[0:1], v5, v9, s[0:1]
	v_lshlrev_b64 v[8:9], 2, v[10:11]
	v_mad_u64_u32 v[10:11], s[0:1], s21, v14, v[6:7]
	v_add_u32_e32 v11, 0x708, v7
	v_mad_u64_u32 v[14:15], s[0:1], s20, v11, 0
	v_add_co_u32_e64 v19, s[0:1], v0, v8
	v_mov_b32_e32 v13, v10
	v_mov_b32_e32 v6, v15
	v_addc_co_u32_e64 v20, s[0:1], v5, v9, s[0:1]
	v_lshlrev_b64 v[9:10], 2, v[12:13]
	v_mad_u64_u32 v[11:12], s[0:1], s21, v11, v[6:7]
	v_add_u32_e32 v8, 0xf0, v7
	v_mad_u64_u32 v[12:13], s[0:1], s20, v8, 0
	v_add_co_u32_e64 v21, s[0:1], v0, v9
	v_mov_b32_e32 v15, v11
	;; [unrolled: 8-line block ×3, first 2 shown]
	v_addc_co_u32_e64 v24, s[0:1], v5, v10, s[0:1]
	v_lshlrev_b64 v[9:10], 2, v[12:13]
	v_mad_u64_u32 v[11:12], s[0:1], s21, v11, v[6:7]
	v_mad_u64_u32 v[12:13], s[0:1], s20, v16, 0
	v_add_co_u32_e64 v25, s[0:1], v0, v9
	v_mov_b32_e32 v15, v11
	v_mov_b32_e32 v6, v13
	v_addc_co_u32_e64 v26, s[0:1], v5, v10, s[0:1]
	v_lshlrev_b64 v[9:10], 2, v[14:15]
	v_mad_u64_u32 v[13:14], s[0:1], s21, v16, v[6:7]
	v_add_u32_e32 v11, 0x7f8, v7
	v_mad_u64_u32 v[14:15], s[0:1], s20, v11, 0
	v_add_co_u32_e64 v27, s[0:1], v0, v9
	v_mov_b32_e32 v6, v15
	v_addc_co_u32_e64 v28, s[0:1], v5, v10, s[0:1]
	v_lshlrev_b64 v[9:10], 2, v[12:13]
	v_mad_u64_u32 v[11:12], s[0:1], s21, v11, v[6:7]
	v_add_co_u32_e64 v29, s[0:1], v0, v9
	v_mov_b32_e32 v15, v11
	v_addc_co_u32_e64 v30, s[0:1], v5, v10, s[0:1]
	v_lshlrev_b64 v[9:10], 2, v[14:15]
	v_add_co_u32_e64 v31, s[0:1], v0, v9
	v_addc_co_u32_e64 v32, s[0:1], v5, v10, s[0:1]
	global_load_dword v9, v[17:18], off
	global_load_dword v10, v[19:20], off
	;; [unrolled: 1-line block ×8, first 2 shown]
	s_movk_i32 s0, 0x78
	v_cmp_gt_u32_e64 s[0:1], s0, v7
	v_mov_b32_e32 v23, 0
	v_mov_b32_e32 v18, 0
	;; [unrolled: 1-line block ×4, first 2 shown]
                                        ; implicit-def: $vgpr29
                                        ; implicit-def: $vgpr30
                                        ; implicit-def: $vgpr28
                                        ; implicit-def: $vgpr19
	s_and_saveexec_b64 s[10:11], s[0:1]
	s_cbranch_execz .LBB0_14
; %bb.13:
	v_add_u32_e32 v21, 0x1e0, v7
	v_mad_u64_u32 v[17:18], s[0:1], s20, v21, 0
	v_add_u32_e32 v23, 0x438, v7
	v_mad_u64_u32 v[19:20], s[0:1], s20, v23, 0
	v_mov_b32_e32 v6, v18
	v_mad_u64_u32 v[21:22], s[0:1], s21, v21, v[6:7]
	v_mov_b32_e32 v6, v20
	v_add_u32_e32 v25, 0x8e8, v7
	v_mov_b32_e32 v18, v21
	v_mad_u64_u32 v[20:21], s[0:1], s21, v23, v[6:7]
	v_add_u32_e32 v23, 0x690, v7
	v_mad_u64_u32 v[21:22], s[0:1], s20, v23, 0
	v_lshlrev_b64 v[17:18], 2, v[17:18]
	v_lshlrev_b64 v[19:20], 2, v[19:20]
	v_add_co_u32_e64 v17, s[0:1], v0, v17
	v_mov_b32_e32 v6, v22
	v_addc_co_u32_e64 v18, s[0:1], v5, v18, s[0:1]
	v_mad_u64_u32 v[22:23], s[0:1], s21, v23, v[6:7]
	v_mad_u64_u32 v[23:24], s[0:1], s20, v25, 0
	v_add_co_u32_e64 v19, s[0:1], v0, v19
	v_mov_b32_e32 v6, v24
	v_addc_co_u32_e64 v20, s[0:1], v5, v20, s[0:1]
	v_mad_u64_u32 v[24:25], s[0:1], s21, v25, v[6:7]
	v_lshlrev_b64 v[21:22], 2, v[21:22]
	v_add_co_u32_e64 v25, s[0:1], v0, v21
	v_addc_co_u32_e64 v26, s[0:1], v5, v22, s[0:1]
	v_lshlrev_b64 v[21:22], 2, v[23:24]
	v_add_co_u32_e64 v30, s[0:1], v0, v21
	v_addc_co_u32_e64 v31, s[0:1], v5, v22, s[0:1]
	global_load_dword v22, v[17:18], off
	global_load_dword v23, v[19:20], off
	;; [unrolled: 1-line block ×4, first 2 shown]
	s_waitcnt vmcnt(3)
	v_lshrrev_b32_e32 v17, 16, v22
	s_waitcnt vmcnt(2)
	v_lshrrev_b32_e32 v18, 16, v23
	;; [unrolled: 2-line block ×4, first 2 shown]
.LBB0_14:
	s_or_b64 exec, exec, s[10:11]
	s_waitcnt vmcnt(7)
	v_lshrrev_b32_e32 v20, 16, v9
	s_waitcnt vmcnt(6)
	v_lshrrev_b32_e32 v21, 16, v10
	;; [unrolled: 2-line block ×8, first 2 shown]
.LBB0_15:
	s_or_b64 exec, exec, s[6:7]
	v_sub_f16_e32 v0, v9, v13
	v_sub_f16_e32 v6, v10, v14
	;; [unrolled: 1-line block ×3, first 2 shown]
	v_fma_f16 v5, v9, 2.0, -v0
	v_fma_f16 v9, v10, 2.0, -v6
	v_sub_f16_e32 v34, v0, v13
	v_sub_f16_e32 v31, v5, v9
	v_fma_f16 v35, v0, 2.0, -v34
	v_sub_f16_e32 v0, v11, v15
	v_sub_f16_e32 v9, v12, v16
	v_fma_f16 v33, v5, 2.0, -v31
	v_fma_f16 v5, v11, 2.0, -v0
	v_sub_f16_e32 v14, v26, v32
	v_fma_f16 v10, v12, 2.0, -v9
	v_sub_f16_e32 v32, v5, v10
	v_sub_f16_e32 v37, v0, v14
	;; [unrolled: 1-line block ×3, first 2 shown]
	v_fma_f16 v36, v5, 2.0, -v32
	v_fma_f16 v38, v0, 2.0, -v37
	;; [unrolled: 1-line block ×3, first 2 shown]
	v_lshl_add_u32 v10, v7, 3, 0
	v_pack_b32_f16 v11, v31, v34
	v_pack_b32_f16 v23, v33, v35
	v_sub_f16_e32 v16, v22, v28
	ds_write2_b32 v10, v23, v11 offset1:1
	v_lshl_add_u32 v11, v8, 3, 0
	v_pack_b32_f16 v23, v32, v37
	v_pack_b32_f16 v28, v36, v38
	v_fma_f16 v22, v22, 2.0, -v16
	v_sub_f16_e32 v15, v18, v30
	ds_write2_b32 v11, v28, v23 offset1:1
	v_add_u32_e32 v23, 0x1e0, v7
	s_movk_i32 s0, 0x78
	v_sub_f16_e32 v0, v22, v0
	v_sub_f16_e32 v5, v16, v15
	v_cmp_gt_u32_e64 s[0:1], s0, v7
	v_lshl_add_u32 v28, v23, 3, 0
	s_and_saveexec_b64 s[6:7], s[0:1]
	s_cbranch_execz .LBB0_17
; %bb.16:
	v_fma_f16 v16, v16, 2.0, -v5
	v_fma_f16 v22, v22, 2.0, -v0
	s_mov_b32 s10, 0x5040100
	v_pack_b32_f16 v16, v22, v16
	v_perm_b32 v22, v5, v0, s10
	ds_write2_b32 v28, v16, v22 offset1:1
.LBB0_17:
	s_or_b64 exec, exec, s[6:7]
	v_sub_f16_e32 v16, v20, v24
	v_fma_f16 v20, v20, 2.0, -v16
	v_fma_f16 v13, v21, 2.0, -v13
	v_add_f16_e32 v31, v16, v6
	v_sub_f16_e32 v6, v25, v27
	v_sub_f16_e32 v29, v20, v13
	v_fma_f16 v13, v25, 2.0, -v6
	v_fma_f16 v14, v26, 2.0, -v14
	v_sub_f16_e32 v26, v13, v14
	v_add_f16_e32 v33, v6, v9
	v_sub_f16_e32 v24, v17, v19
	v_mad_i32_i24 v14, v7, -6, v10
	v_mad_i32_i24 v21, v8, -6, v11
	v_fma_f16 v30, v20, 2.0, -v29
	v_fma_f16 v32, v16, 2.0, -v31
	;; [unrolled: 1-line block ×6, first 2 shown]
	v_add_f16_e32 v9, v24, v12
	s_waitcnt lgkmcnt(0)
	s_barrier
	ds_read_u16 v12, v14
	ds_read_u16 v20, v14 offset:960
	ds_read_u16 v19, v14 offset:1440
	;; [unrolled: 1-line block ×7, first 2 shown]
	ds_read_u16 v21, v21
	ds_read_u16 v14, v14 offset:4320
	v_sub_f16_e32 v6, v25, v6
	v_mul_i32_i24_e32 v22, -6, v7
	v_mul_i32_i24_e32 v23, -6, v8
	v_pack_b32_f16 v30, v30, v32
	v_pack_b32_f16 v29, v29, v31
	;; [unrolled: 1-line block ×4, first 2 shown]
	s_waitcnt lgkmcnt(0)
	s_barrier
	ds_write2_b32 v10, v30, v29 offset1:1
	ds_write2_b32 v11, v27, v26 offset1:1
	s_and_saveexec_b64 s[6:7], s[0:1]
	s_cbranch_execz .LBB0_19
; %bb.18:
	v_fma_f16 v25, v25, 2.0, -v6
	v_fma_f16 v24, v24, 2.0, -v9
	s_mov_b32 s0, 0x5040100
	v_pack_b32_f16 v24, v25, v24
	v_perm_b32 v25, v9, v6, s0
	ds_write2_b32 v28, v24, v25 offset1:1
.LBB0_19:
	s_or_b64 exec, exec, s[6:7]
	v_and_b32_e32 v32, 3, v7
	v_mul_u32_u24_e32 v24, 9, v32
	v_lshlrev_b32_e32 v33, 2, v24
	s_waitcnt lgkmcnt(0)
	s_barrier
	global_load_dwordx4 v[24:27], v33, s[8:9]
	global_load_dwordx4 v[28:31], v33, s[8:9] offset:16
	global_load_dword v34, v33, s[8:9] offset:32
	v_add_u32_e32 v11, v11, v23
	v_add_u32_e32 v10, v10, v22
	ds_read_u16 v22, v11
	ds_read_u16 v23, v10 offset:4320
	ds_read_u16 v33, v10 offset:960
	;; [unrolled: 1-line block ×8, first 2 shown]
	ds_read_u16 v41, v10
	s_movk_i32 s16, 0x3b9c
	s_mov_b32 s11, 0xbb9c
	s_movk_i32 s13, 0x38b4
	s_mov_b32 s10, 0xb8b4
	s_movk_i32 s12, 0x34f2
	s_movk_i32 s17, 0x3a79
	;; [unrolled: 1-line block ×3, first 2 shown]
	s_waitcnt vmcnt(0) lgkmcnt(0)
	s_barrier
	v_mul_f16_sdwa v44, v33, v25 dst_sel:DWORD dst_unused:UNUSED_PAD src0_sel:DWORD src1_sel:WORD_1
	v_mul_f16_sdwa v48, v36, v27 dst_sel:DWORD dst_unused:UNUSED_PAD src0_sel:DWORD src1_sel:WORD_1
	;; [unrolled: 1-line block ×16, first 2 shown]
	v_fma_f16 v20, v20, v25, -v44
	v_fma_f16 v18, v18, v27, -v48
	;; [unrolled: 1-line block ×4, first 2 shown]
	v_mul_f16_sdwa v58, v23, v34 dst_sel:DWORD dst_unused:UNUSED_PAD src0_sel:DWORD src1_sel:WORD_1
	v_mul_f16_sdwa v59, v14, v34 dst_sel:DWORD dst_unused:UNUSED_PAD src0_sel:DWORD src1_sel:WORD_1
	v_fma_f16 v21, v21, v24, -v42
	v_fma_f16 v22, v22, v24, v43
	v_fma_f16 v24, v33, v25, v45
	v_fma_f16 v19, v19, v26, -v46
	v_fma_f16 v25, v35, v26, v47
	v_fma_f16 v26, v36, v27, v49
	;; [unrolled: 3-line block ×4, first 2 shown]
	v_add_f16_e32 v33, v18, v16
	v_add_f16_e32 v38, v20, v13
	v_fma_f16 v14, v14, v34, -v58
	v_fma_f16 v23, v23, v34, v59
	v_add_f16_e32 v31, v12, v20
	v_sub_f16_e32 v34, v24, v30
	v_sub_f16_e32 v35, v26, v28
	;; [unrolled: 1-line block ×6, first 2 shown]
	v_fma_f16 v33, v33, -0.5, v12
	v_fma_f16 v12, v38, -0.5, v12
	v_add_f16_e32 v36, v36, v37
	v_add_f16_e32 v37, v39, v40
	v_fma_f16 v38, v34, s16, v33
	v_fma_f16 v33, v34, s11, v33
	;; [unrolled: 1-line block ×4, first 2 shown]
	v_add_f16_e32 v31, v31, v18
	v_fma_f16 v38, v35, s13, v38
	v_fma_f16 v33, v35, s10, v33
	;; [unrolled: 1-line block ×4, first 2 shown]
	v_add_f16_e32 v31, v31, v16
	v_fma_f16 v35, v37, s12, v35
	v_fma_f16 v12, v37, s12, v12
	v_add_f16_e32 v37, v26, v28
	v_add_f16_e32 v31, v31, v13
	v_fma_f16 v37, v37, -0.5, v41
	v_sub_f16_e32 v13, v20, v13
	v_fma_f16 v20, v13, s11, v37
	v_sub_f16_e32 v16, v18, v16
	v_fma_f16 v34, v36, s12, v38
	v_fma_f16 v18, v16, s10, v20
	v_sub_f16_e32 v20, v24, v26
	v_sub_f16_e32 v38, v30, v28
	v_fma_f16 v37, v13, s16, v37
	v_add_f16_e32 v20, v20, v38
	v_fma_f16 v37, v16, s13, v37
	v_fma_f16 v18, v20, s12, v18
	;; [unrolled: 1-line block ×3, first 2 shown]
	v_add_f16_e32 v37, v24, v30
	v_fma_f16 v33, v36, s12, v33
	v_add_f16_e32 v36, v41, v24
	v_fma_f16 v37, v37, -0.5, v41
	v_add_f16_e32 v36, v36, v26
	v_fma_f16 v38, v16, s16, v37
	v_sub_f16_e32 v24, v26, v24
	v_sub_f16_e32 v26, v28, v30
	v_fma_f16 v16, v16, s11, v37
	v_fma_f16 v38, v13, s10, v38
	v_add_f16_e32 v24, v24, v26
	v_fma_f16 v13, v13, s13, v16
	v_fma_f16 v26, v24, s12, v38
	;; [unrolled: 1-line block ×3, first 2 shown]
	v_add_f16_e32 v24, v17, v15
	v_add_f16_e32 v36, v36, v28
	v_fma_f16 v24, v24, -0.5, v21
	v_sub_f16_e32 v28, v25, v23
	v_add_f16_e32 v36, v36, v30
	v_fma_f16 v30, v28, s16, v24
	v_sub_f16_e32 v37, v27, v29
	v_sub_f16_e32 v38, v19, v17
	;; [unrolled: 1-line block ×3, first 2 shown]
	v_fma_f16 v24, v28, s11, v24
	v_fma_f16 v30, v37, s13, v30
	v_add_f16_e32 v38, v38, v39
	v_fma_f16 v24, v37, s10, v24
	v_add_f16_e32 v16, v21, v19
	v_fma_f16 v30, v38, s12, v30
	v_fma_f16 v24, v38, s12, v24
	v_add_f16_e32 v38, v19, v14
	v_add_f16_e32 v16, v16, v17
	v_fma_f16 v21, v38, -0.5, v21
	v_add_f16_e32 v16, v16, v15
	v_fma_f16 v38, v37, s11, v21
	v_fma_f16 v21, v37, s16, v21
	v_add_f16_e32 v37, v27, v29
	v_add_f16_e32 v16, v16, v14
	v_sub_f16_e32 v39, v17, v19
	v_sub_f16_e32 v40, v15, v14
	v_fma_f16 v37, v37, -0.5, v22
	v_sub_f16_e32 v14, v19, v14
	v_fma_f16 v38, v28, s13, v38
	v_add_f16_e32 v39, v39, v40
	v_fma_f16 v21, v28, s10, v21
	v_fma_f16 v19, v14, s11, v37
	v_sub_f16_e32 v15, v17, v15
	v_fma_f16 v38, v39, s12, v38
	v_fma_f16 v21, v39, s12, v21
	v_fma_f16 v17, v15, s10, v19
	v_sub_f16_e32 v19, v25, v27
	v_sub_f16_e32 v39, v23, v29
	v_fma_f16 v37, v14, s16, v37
	v_add_f16_e32 v28, v22, v25
	v_add_f16_e32 v19, v19, v39
	v_fma_f16 v37, v15, s13, v37
	v_add_f16_e32 v28, v28, v27
	v_fma_f16 v17, v19, s12, v17
	v_fma_f16 v19, v19, s12, v37
	v_add_f16_e32 v37, v25, v23
	v_add_f16_e32 v28, v28, v29
	v_fma_f16 v22, v37, -0.5, v22
	v_add_f16_e32 v28, v28, v23
	v_fma_f16 v37, v15, s16, v22
	v_sub_f16_e32 v25, v27, v25
	v_sub_f16_e32 v23, v29, v23
	v_fma_f16 v15, v15, s11, v22
	v_fma_f16 v37, v14, s10, v37
	v_add_f16_e32 v23, v25, v23
	v_fma_f16 v14, v14, s13, v15
	v_fma_f16 v25, v23, s12, v37
	;; [unrolled: 1-line block ×3, first 2 shown]
	v_mul_f16_e32 v37, 0x34f2, v21
	v_mul_f16_e32 v40, 0x3a79, v24
	;; [unrolled: 1-line block ×3, first 2 shown]
	v_fma_f16 v37, v14, s16, -v37
	v_fma_f16 v40, v19, s13, -v40
	v_mul_f16_e32 v14, 0x34f2, v14
	v_mul_f16_e32 v19, 0x3a79, v19
	v_fma_f16 v22, v30, s17, v22
	v_fma_f16 v14, v21, s11, -v14
	v_fma_f16 v19, v24, s10, -v19
	v_add_f16_e32 v15, v31, v16
	v_add_f16_e32 v23, v34, v22
	v_sub_f16_e32 v16, v31, v16
	v_add_f16_e32 v31, v13, v14
	v_sub_f16_e32 v22, v34, v22
	;; [unrolled: 2-line block ×3, first 2 shown]
	v_sub_f16_e32 v14, v20, v19
	v_lshrrev_b32_e32 v19, 2, v7
	v_mul_f16_e32 v27, 0x3b9c, v25
	v_mul_u32_u24_e32 v19, 40, v19
	v_fma_f16 v27, v38, s12, v27
	v_mul_f16_e32 v38, 0xbb9c, v38
	v_or_b32_e32 v19, v19, v32
	v_add_f16_e32 v39, v12, v37
	v_mul_f16_e32 v30, 0xb8b4, v30
	v_fma_f16 v25, v25, s12, v38
	v_sub_f16_e32 v12, v12, v37
	v_lshl_add_u32 v19, v19, 1, 0
	v_add_f16_e32 v29, v35, v27
	v_fma_f16 v17, v17, s17, v30
	v_add_f16_e32 v30, v33, v40
	v_add_f16_e32 v38, v36, v28
	;; [unrolled: 1-line block ×3, first 2 shown]
	v_sub_f16_e32 v27, v35, v27
	v_sub_f16_e32 v33, v33, v40
	ds_write_b16 v19, v15
	ds_write_b16 v19, v23 offset:8
	ds_write_b16 v19, v29 offset:16
	;; [unrolled: 1-line block ×9, first 2 shown]
	v_mul_lo_u16_sdwa v12, v7, s0 dst_sel:DWORD dst_unused:UNUSED_PAD src0_sel:BYTE_0 src1_sel:DWORD
	v_add_f16_e32 v21, v18, v17
	v_sub_f16_e32 v28, v36, v28
	v_sub_f16_e32 v17, v18, v17
	;; [unrolled: 1-line block ×3, first 2 shown]
	s_waitcnt lgkmcnt(0)
	s_barrier
	ds_read_u16 v25, v10
	ds_read_u16 v26, v10 offset:960
	ds_read_u16 v27, v10 offset:1440
	;; [unrolled: 1-line block ×7, first 2 shown]
	ds_read_u16 v16, v11
	ds_read_u16 v39, v10 offset:4320
	s_waitcnt lgkmcnt(0)
	s_barrier
	ds_write_b16 v19, v38
	ds_write_b16 v19, v21 offset:8
	ds_write_b16 v19, v24 offset:16
	;; [unrolled: 1-line block ×9, first 2 shown]
	v_lshrrev_b16_e32 v24, 13, v12
	v_mul_lo_u16_e32 v12, 40, v24
	v_sub_u16_e32 v44, v7, v12
	v_mov_b32_e32 v12, 9
	v_mul_u32_u24_sdwa v12, v44, v12 dst_sel:DWORD dst_unused:UNUSED_PAD src0_sel:BYTE_0 src1_sel:DWORD
	v_lshlrev_b32_e32 v17, 2, v12
	s_waitcnt lgkmcnt(0)
	s_barrier
	global_load_dwordx4 v[12:15], v17, s[8:9] offset:144
	global_load_dwordx4 v[20:23], v17, s[8:9] offset:160
	global_load_dword v31, v17, s[8:9] offset:176
	ds_read_u16 v17, v11
	ds_read_u16 v38, v10 offset:4320
	v_mul_u32_u24_e32 v24, 0x320, v24
	s_movk_i32 s0, 0xa0
	v_cmp_gt_u32_e64 s[0:1], s0, v7
	s_waitcnt vmcnt(2) lgkmcnt(1)
	v_mul_f16_sdwa v18, v17, v12 dst_sel:DWORD dst_unused:UNUSED_PAD src0_sel:DWORD src1_sel:WORD_1
	v_fma_f16 v40, v16, v12, -v18
	v_mul_f16_sdwa v16, v16, v12 dst_sel:DWORD dst_unused:UNUSED_PAD src0_sel:DWORD src1_sel:WORD_1
	v_fma_f16 v16, v17, v12, v16
	ds_read_u16 v12, v10 offset:960
	ds_read_u16 v17, v10 offset:1440
	ds_read_u16 v28, v10 offset:1920
	ds_read_u16 v34, v10 offset:2400
	ds_read_u16 v41, v10 offset:2880
	ds_read_u16 v42, v10 offset:3360
	ds_read_u16 v43, v10 offset:3840
	ds_read_u16 v18, v10
	s_waitcnt lgkmcnt(7)
	v_mul_f16_sdwa v19, v12, v13 dst_sel:DWORD dst_unused:UNUSED_PAD src0_sel:DWORD src1_sel:WORD_1
	v_fma_f16 v29, v26, v13, -v19
	v_mul_f16_sdwa v19, v26, v13 dst_sel:DWORD dst_unused:UNUSED_PAD src0_sel:DWORD src1_sel:WORD_1
	v_fma_f16 v19, v12, v13, v19
	v_mul_f16_sdwa v13, v27, v14 dst_sel:DWORD dst_unused:UNUSED_PAD src0_sel:DWORD src1_sel:WORD_1
	s_waitcnt lgkmcnt(6)
	v_mul_f16_sdwa v12, v17, v14 dst_sel:DWORD dst_unused:UNUSED_PAD src0_sel:DWORD src1_sel:WORD_1
	v_fma_f16 v17, v17, v14, v13
	s_waitcnt lgkmcnt(5)
	v_mul_f16_sdwa v13, v28, v15 dst_sel:DWORD dst_unused:UNUSED_PAD src0_sel:DWORD src1_sel:WORD_1
	v_fma_f16 v32, v30, v15, -v13
	v_mul_f16_sdwa v13, v30, v15 dst_sel:DWORD dst_unused:UNUSED_PAD src0_sel:DWORD src1_sel:WORD_1
	v_fma_f16 v12, v27, v14, -v12
	v_fma_f16 v27, v28, v15, v13
	s_waitcnt vmcnt(1)
	v_mul_f16_sdwa v14, v33, v20 dst_sel:DWORD dst_unused:UNUSED_PAD src0_sel:DWORD src1_sel:WORD_1
	v_mul_f16_sdwa v15, v36, v22 dst_sel:DWORD dst_unused:UNUSED_PAD src0_sel:DWORD src1_sel:WORD_1
	s_waitcnt lgkmcnt(4)
	v_fma_f16 v26, v34, v20, v14
	s_waitcnt lgkmcnt(3)
	v_mul_f16_sdwa v14, v41, v21 dst_sel:DWORD dst_unused:UNUSED_PAD src0_sel:DWORD src1_sel:WORD_1
	s_waitcnt lgkmcnt(2)
	v_fma_f16 v28, v42, v22, v15
	s_waitcnt lgkmcnt(1)
	v_mul_f16_sdwa v15, v43, v23 dst_sel:DWORD dst_unused:UNUSED_PAD src0_sel:DWORD src1_sel:WORD_1
	v_mul_f16_sdwa v13, v34, v20 dst_sel:DWORD dst_unused:UNUSED_PAD src0_sel:DWORD src1_sel:WORD_1
	v_fma_f16 v34, v35, v21, -v14
	v_mul_f16_sdwa v14, v35, v21 dst_sel:DWORD dst_unused:UNUSED_PAD src0_sel:DWORD src1_sel:WORD_1
	v_fma_f16 v35, v37, v23, -v15
	;; [unrolled: 2-line block ×3, first 2 shown]
	v_fma_f16 v33, v43, v23, v15
	s_waitcnt vmcnt(0)
	v_mul_f16_sdwa v15, v38, v31 dst_sel:DWORD dst_unused:UNUSED_PAD src0_sel:DWORD src1_sel:WORD_1
	v_mul_f16_sdwa v20, v39, v31 dst_sel:DWORD dst_unused:UNUSED_PAD src0_sel:DWORD src1_sel:WORD_1
	v_fma_f16 v15, v39, v31, -v15
	v_fma_f16 v31, v38, v31, v20
	v_add_f16_e32 v20, v32, v34
	v_fma_f16 v30, v41, v21, v14
	v_mul_f16_sdwa v14, v42, v22 dst_sel:DWORD dst_unused:UNUSED_PAD src0_sel:DWORD src1_sel:WORD_1
	v_fma_f16 v20, v20, -0.5, v25
	v_sub_f16_e32 v21, v19, v33
	v_fma_f16 v14, v36, v22, -v14
	v_fma_f16 v22, v21, s16, v20
	v_sub_f16_e32 v23, v27, v30
	v_sub_f16_e32 v36, v29, v32
	;; [unrolled: 1-line block ×3, first 2 shown]
	v_fma_f16 v20, v21, s11, v20
	v_fma_f16 v22, v23, s13, v22
	v_add_f16_e32 v36, v36, v37
	v_fma_f16 v20, v23, s10, v20
	v_fma_f16 v22, v36, s12, v22
	;; [unrolled: 1-line block ×3, first 2 shown]
	v_add_f16_e32 v36, v29, v35
	v_fma_f16 v36, v36, -0.5, v25
	v_fma_f16 v37, v23, s11, v36
	v_sub_f16_e32 v38, v32, v29
	v_sub_f16_e32 v39, v34, v35
	v_fma_f16 v23, v23, s16, v36
	v_fma_f16 v37, v21, s13, v37
	v_add_f16_e32 v38, v38, v39
	v_fma_f16 v21, v21, s10, v23
	v_add_f16_e32 v23, v13, v14
	v_fma_f16 v45, v38, s12, v37
	v_fma_f16 v21, v38, s12, v21
	v_fma_f16 v23, v23, -0.5, v40
	v_sub_f16_e32 v38, v17, v31
	v_sub_f16_e32 v36, v12, v13
	;; [unrolled: 1-line block ×3, first 2 shown]
	v_add_f16_e32 v36, v36, v37
	v_fma_f16 v37, v38, s16, v23
	v_sub_f16_e32 v39, v26, v28
	v_fma_f16 v23, v38, s11, v23
	v_fma_f16 v37, v39, s13, v37
	v_fma_f16 v23, v39, s10, v23
	v_fma_f16 v37, v36, s12, v37
	v_fma_f16 v36, v36, s12, v23
	v_sub_f16_e32 v23, v13, v12
	v_sub_f16_e32 v41, v14, v15
	v_add_f16_e32 v23, v23, v41
	v_add_f16_e32 v41, v12, v15
	v_fma_f16 v41, v41, -0.5, v40
	v_fma_f16 v42, v39, s11, v41
	v_fma_f16 v39, v39, s16, v41
	;; [unrolled: 1-line block ×6, first 2 shown]
	v_add_f16_e32 v23, v40, v12
	v_add_f16_e32 v23, v23, v13
	;; [unrolled: 1-line block ×4, first 2 shown]
	v_sub_f16_e32 v12, v12, v15
	v_sub_f16_e32 v13, v13, v14
	;; [unrolled: 1-line block ×4, first 2 shown]
	v_add_f16_e32 v14, v14, v15
	v_add_f16_e32 v15, v26, v28
	v_fma_f16 v15, v15, -0.5, v16
	v_fma_f16 v40, v12, s11, v15
	v_fma_f16 v15, v12, s16, v15
	;; [unrolled: 1-line block ×6, first 2 shown]
	v_sub_f16_e32 v14, v26, v17
	v_sub_f16_e32 v15, v28, v31
	v_add_f16_e32 v14, v14, v15
	v_add_f16_e32 v15, v17, v31
	v_fma_f16 v15, v15, -0.5, v16
	v_fma_f16 v42, v13, s16, v15
	v_fma_f16 v13, v13, s11, v15
	;; [unrolled: 1-line block ×5, first 2 shown]
	v_add_f16_e32 v12, v25, v29
	v_add_f16_e32 v12, v12, v32
	;; [unrolled: 1-line block ×3, first 2 shown]
	v_fma_f16 v43, v14, s12, v15
	v_add_f16_e32 v12, v12, v35
	v_add_f16_e32 v25, v12, v23
	v_sub_f16_e32 v23, v12, v23
	v_mul_f16_e32 v12, 0x38b4, v41
	v_mul_f16_e32 v13, 0x3b9c, v43
	;; [unrolled: 1-line block ×4, first 2 shown]
	v_fma_f16 v12, v37, s17, v12
	v_fma_f16 v13, v39, s12, v13
	v_fma_f16 v14, v42, s16, -v14
	v_fma_f16 v15, v40, s13, -v15
	v_add_f16_e32 v46, v22, v12
	v_sub_f16_e32 v12, v22, v12
	v_add_f16_e32 v22, v45, v13
	v_sub_f16_e32 v13, v45, v13
	;; [unrolled: 2-line block ×4, first 2 shown]
	v_mov_b32_e32 v20, 1
	v_lshlrev_b32_sdwa v20, v20, v44 dst_sel:DWORD dst_unused:UNUSED_PAD src0_sel:DWORD src1_sel:BYTE_0
	v_add3_u32 v44, 0, v24, v20
	s_waitcnt lgkmcnt(0)
	s_barrier
	ds_write_b16 v44, v25
	ds_write_b16 v44, v46 offset:80
	ds_write_b16 v44, v22 offset:160
	;; [unrolled: 1-line block ×9, first 2 shown]
	s_waitcnt lgkmcnt(0)
	s_barrier
	ds_read_u16 v20, v10
	ds_read_u16 v21, v10 offset:800
	ds_read_u16 v24, v10 offset:1600
	;; [unrolled: 1-line block ×5, first 2 shown]
	s_and_saveexec_b64 s[6:7], s[0:1]
	s_cbranch_execz .LBB0_21
; %bb.20:
	ds_read_u16 v13, v10 offset:1280
	ds_read_u16 v14, v10 offset:2080
	;; [unrolled: 1-line block ×4, first 2 shown]
	ds_read_u16 v12, v11
	ds_read_u16 v5, v10 offset:4480
.LBB0_21:
	s_or_b64 exec, exec, s[6:7]
	v_add_f16_e32 v46, v27, v30
	v_fma_f16 v46, v46, -0.5, v18
	v_sub_f16_e32 v29, v29, v35
	v_fma_f16 v35, v29, s11, v46
	v_sub_f16_e32 v32, v32, v34
	v_fma_f16 v34, v32, s10, v35
	v_sub_f16_e32 v35, v19, v27
	v_sub_f16_e32 v47, v33, v30
	v_fma_f16 v46, v29, s16, v46
	v_add_f16_e32 v35, v35, v47
	v_fma_f16 v46, v32, s13, v46
	v_fma_f16 v34, v35, s12, v34
	;; [unrolled: 1-line block ×3, first 2 shown]
	v_add_f16_e32 v46, v19, v33
	v_add_f16_e32 v45, v18, v19
	v_fma_f16 v18, v46, -0.5, v18
	v_add_f16_e32 v45, v45, v27
	v_fma_f16 v46, v32, s16, v18
	v_sub_f16_e32 v19, v27, v19
	v_sub_f16_e32 v27, v30, v33
	v_fma_f16 v18, v32, s11, v18
	v_add_f16_e32 v16, v16, v17
	v_fma_f16 v46, v29, s10, v46
	v_add_f16_e32 v19, v19, v27
	;; [unrolled: 2-line block ×3, first 2 shown]
	v_add_f16_e32 v45, v45, v30
	v_fma_f16 v27, v19, s12, v46
	v_fma_f16 v18, v19, s12, v18
	v_add_f16_e32 v16, v16, v28
	v_mul_f16_e32 v17, 0xb8b4, v37
	v_mul_f16_e32 v19, 0xbb9c, v39
	;; [unrolled: 1-line block ×3, first 2 shown]
	v_add_f16_e32 v45, v45, v33
	v_add_f16_e32 v16, v16, v31
	v_fma_f16 v17, v41, s17, v17
	v_fma_f16 v19, v43, s12, v19
	v_fma_f16 v30, v38, s11, -v30
	v_mul_f16_e32 v32, 0x3a79, v40
	v_add_f16_e32 v26, v45, v16
	v_add_f16_e32 v28, v34, v17
	;; [unrolled: 1-line block ×4, first 2 shown]
	v_fma_f16 v32, v36, s10, -v32
	v_add_f16_e32 v33, v35, v32
	v_sub_f16_e32 v36, v45, v16
	v_sub_f16_e32 v16, v34, v17
	;; [unrolled: 1-line block ×5, first 2 shown]
	s_waitcnt lgkmcnt(0)
	s_barrier
	ds_write_b16 v44, v26
	ds_write_b16 v44, v28 offset:80
	ds_write_b16 v44, v29 offset:160
	;; [unrolled: 1-line block ×9, first 2 shown]
	s_waitcnt lgkmcnt(0)
	s_barrier
	ds_read_u16 v26, v10
	ds_read_u16 v27, v10 offset:800
	ds_read_u16 v30, v10 offset:1600
	ds_read_u16 v28, v10 offset:2400
	ds_read_u16 v31, v10 offset:3200
	ds_read_u16 v29, v10 offset:4000
	s_and_saveexec_b64 s[6:7], s[0:1]
	s_cbranch_execz .LBB0_23
; %bb.22:
	ds_read_u16 v19, v10 offset:1280
	ds_read_u16 v18, v10 offset:2080
	;; [unrolled: 1-line block ×4, first 2 shown]
	ds_read_u16 v16, v11
	ds_read_u16 v9, v10 offset:4480
.LBB0_23:
	s_or_b64 exec, exec, s[6:7]
	s_and_saveexec_b64 s[6:7], vcc
	s_cbranch_execz .LBB0_26
; %bb.24:
	v_mul_u32_u24_e32 v10, 5, v7
	v_lshlrev_b32_e32 v10, 2, v10
	global_load_dwordx4 v[32:35], v10, s[8:9] offset:1584
	global_load_dword v38, v10, s[8:9] offset:1600
	v_mul_lo_u32 v36, s5, v3
	s_mov_b32 s5, 0x51eb851f
	v_mul_hi_u32 v10, v7, s5
	v_mul_lo_u32 v37, s4, v4
	v_mad_u64_u32 v[3:4], s[4:5], s4, v3, 0
	v_lshrrev_b32_e32 v10, 7, v10
	v_mul_u32_u24_e32 v10, 0x190, v10
	v_sub_u32_e32 v39, v7, v10
	v_mad_u64_u32 v[10:11], s[6:7], s2, v39, 0
	v_add3_u32 v4, v4, v37, v36
	s_movk_i32 s4, 0x3aee
	v_mad_u64_u32 v[36:37], s[6:7], s3, v39, v[11:12]
	s_mov_b32 s5, 0xbaee
	v_lshlrev_b64 v[3:4], 2, v[3:4]
	v_lshlrev_b64 v[1:2], 2, v[1:2]
	s_movk_i32 s10, 0x190
	s_waitcnt vmcnt(1) lgkmcnt(2)
	v_mul_f16_sdwa v43, v28, v34 dst_sel:DWORD dst_unused:UNUSED_PAD src0_sel:DWORD src1_sel:WORD_1
	s_waitcnt vmcnt(0) lgkmcnt(0)
	v_mul_f16_sdwa v44, v29, v38 dst_sel:DWORD dst_unused:UNUSED_PAD src0_sel:DWORD src1_sel:WORD_1
	v_mul_f16_sdwa v45, v22, v34 dst_sel:DWORD dst_unused:UNUSED_PAD src0_sel:DWORD src1_sel:WORD_1
	v_mul_f16_sdwa v46, v23, v38 dst_sel:DWORD dst_unused:UNUSED_PAD src0_sel:DWORD src1_sel:WORD_1
	v_mul_f16_sdwa v11, v30, v33 dst_sel:DWORD dst_unused:UNUSED_PAD src0_sel:DWORD src1_sel:WORD_1
	v_mul_f16_sdwa v37, v31, v35 dst_sel:DWORD dst_unused:UNUSED_PAD src0_sel:DWORD src1_sel:WORD_1
	v_mul_f16_sdwa v40, v24, v33 dst_sel:DWORD dst_unused:UNUSED_PAD src0_sel:DWORD src1_sel:WORD_1
	v_mul_f16_sdwa v41, v25, v35 dst_sel:DWORD dst_unused:UNUSED_PAD src0_sel:DWORD src1_sel:WORD_1
	v_mul_f16_sdwa v42, v27, v32 dst_sel:DWORD dst_unused:UNUSED_PAD src0_sel:DWORD src1_sel:WORD_1
	v_mul_f16_sdwa v47, v21, v32 dst_sel:DWORD dst_unused:UNUSED_PAD src0_sel:DWORD src1_sel:WORD_1
	v_fma_f16 v22, v22, v34, -v43
	v_fma_f16 v23, v23, v38, -v44
	v_fma_f16 v28, v28, v34, v45
	v_fma_f16 v29, v29, v38, v46
	v_fma_f16 v11, v24, v33, -v11
	v_fma_f16 v24, v25, v35, -v37
	v_fma_f16 v25, v30, v33, v40
	v_fma_f16 v30, v31, v35, v41
	v_fma_f16 v21, v21, v32, -v42
	v_fma_f16 v27, v27, v32, v47
	v_add_f16_e32 v33, v22, v23
	v_add_f16_e32 v37, v28, v29
	v_sub_f16_e32 v31, v11, v24
	v_add_f16_e32 v32, v25, v30
	v_sub_f16_e32 v34, v28, v29
	v_sub_f16_e32 v35, v22, v23
	v_add_f16_e32 v38, v26, v25
	v_add_f16_e32 v28, v27, v28
	;; [unrolled: 1-line block ×5, first 2 shown]
	v_fma_f16 v21, v33, -0.5, v21
	v_fma_f16 v27, v37, -0.5, v27
	v_sub_f16_e32 v25, v25, v30
	v_fma_f16 v26, v32, -0.5, v26
	v_add_f16_e32 v30, v38, v30
	v_add_f16_e32 v28, v28, v29
	v_fma_f16 v20, v40, -0.5, v20
	v_add_f16_e32 v11, v11, v24
	v_add_f16_e32 v22, v22, v23
	v_fma_f16 v24, v34, s5, v21
	v_fma_f16 v29, v35, s4, v27
	;; [unrolled: 1-line block ×6, first 2 shown]
	v_sub_f16_e32 v31, v30, v28
	v_fma_f16 v32, v25, s5, v20
	v_fma_f16 v20, v25, s4, v20
	v_sub_f16_e32 v25, v11, v22
	v_add_f16_e32 v28, v30, v28
	v_add_f16_e32 v22, v11, v22
	v_mul_f16_e32 v11, -0.5, v29
	v_mul_f16_e32 v30, 0xbaee, v21
	v_mul_f16_e32 v33, -0.5, v24
	v_mul_f16_e32 v34, 0x3aee, v27
	v_fma_f16 v11, v24, s5, v11
	v_fma_f16 v24, v27, 0.5, v30
	v_fma_f16 v27, v29, s4, v33
	v_fma_f16 v21, v21, 0.5, v34
	v_sub_f16_e32 v30, v26, v24
	v_sub_f16_e32 v33, v32, v27
	;; [unrolled: 1-line block ×3, first 2 shown]
	v_add_f16_e32 v24, v26, v24
	v_add_f16_e32 v26, v32, v27
	;; [unrolled: 1-line block ×3, first 2 shown]
	v_mov_b32_e32 v20, s15
	v_add_co_u32_e32 v21, vcc, s14, v3
	v_add_u32_e32 v32, 0x190, v39
	v_addc_co_u32_e32 v20, vcc, v20, v4, vcc
	v_mad_u64_u32 v[3:4], s[6:7], s2, v32, 0
	v_sub_f16_e32 v29, v23, v11
	v_add_f16_e32 v23, v23, v11
	v_mov_b32_e32 v11, v36
	v_add_co_u32_e32 v1, vcc, v21, v1
	v_addc_co_u32_e32 v2, vcc, v20, v2, vcc
	v_lshlrev_b64 v[10:11], 2, v[10:11]
	v_mad_u64_u32 v[20:21], s[6:7], s3, v32, v[4:5]
	v_add_co_u32_e32 v10, vcc, v1, v10
	v_addc_co_u32_e32 v11, vcc, v2, v11, vcc
	v_pack_b32_f16 v4, v22, v28
	global_store_dword v[10:11], v4, off
	v_mov_b32_e32 v4, v20
	v_add_u32_e32 v20, 0x320, v39
	v_mad_u64_u32 v[10:11], s[6:7], s2, v20, 0
	v_pack_b32_f16 v24, v27, v24
	v_add_u32_e32 v27, 0x4b0, v39
	v_mad_u64_u32 v[20:21], s[6:7], s3, v20, v[11:12]
	v_lshlrev_b64 v[3:4], 2, v[3:4]
	v_mad_u64_u32 v[21:22], s[6:7], s2, v27, 0
	v_add_co_u32_e32 v3, vcc, v1, v3
	v_addc_co_u32_e32 v4, vcc, v2, v4, vcc
	v_mov_b32_e32 v11, v20
	global_store_dword v[3:4], v24, off
	v_lshlrev_b64 v[3:4], 2, v[10:11]
	v_mov_b32_e32 v10, v22
	v_mad_u64_u32 v[10:11], s[6:7], s3, v27, v[10:11]
	v_add_co_u32_e32 v3, vcc, v1, v3
	v_addc_co_u32_e32 v4, vcc, v2, v4, vcc
	v_pack_b32_f16 v11, v26, v23
	v_add_u32_e32 v20, 0x640, v39
	global_store_dword v[3:4], v11, off
	v_mov_b32_e32 v22, v10
	v_mad_u64_u32 v[10:11], s[6:7], s2, v20, 0
	v_lshlrev_b64 v[3:4], 2, v[21:22]
	v_add_u32_e32 v24, 0x7d0, v39
	v_mad_u64_u32 v[20:21], s[6:7], s3, v20, v[11:12]
	v_mad_u64_u32 v[21:22], s[6:7], s2, v24, 0
	v_add_co_u32_e32 v3, vcc, v1, v3
	v_addc_co_u32_e32 v4, vcc, v2, v4, vcc
	v_pack_b32_f16 v23, v25, v31
	v_mov_b32_e32 v11, v20
	global_store_dword v[3:4], v23, off
	v_lshlrev_b64 v[3:4], 2, v[10:11]
	v_mov_b32_e32 v10, v22
	v_mad_u64_u32 v[10:11], s[6:7], s3, v24, v[10:11]
	v_add_co_u32_e32 v3, vcc, v1, v3
	v_addc_co_u32_e32 v4, vcc, v2, v4, vcc
	v_pack_b32_f16 v11, v34, v30
	v_mov_b32_e32 v22, v10
	global_store_dword v[3:4], v11, off
	v_lshlrev_b64 v[3:4], 2, v[21:22]
	v_pack_b32_f16 v10, v33, v29
	v_add_co_u32_e32 v3, vcc, v1, v3
	v_addc_co_u32_e32 v4, vcc, v2, v4, vcc
	global_store_dword v[3:4], v10, off
	v_add_u32_e32 v3, 0xf0, v7
	v_cmp_gt_u32_e32 vcc, s10, v3
	s_and_b64 exec, exec, vcc
	s_cbranch_execz .LBB0_26
; %bb.25:
	v_add_u32_e32 v4, 0xffffff60, v7
	v_cndmask_b32_e64 v4, v4, v8, s[0:1]
	v_mul_i32_i24_e32 v10, 5, v4
	v_mov_b32_e32 v11, 0
	v_lshlrev_b64 v[10:11], 2, v[10:11]
	v_mov_b32_e32 v4, s9
	v_add_co_u32_e32 v10, vcc, s8, v10
	v_addc_co_u32_e32 v11, vcc, v4, v11, vcc
	global_load_dwordx4 v[20:23], v[10:11], off offset:1584
	global_load_dword v8, v[10:11], off offset:1600
	v_mad_u64_u32 v[10:11], s[0:1], s2, v3, 0
	v_add_u32_e32 v26, 0x280, v7
	v_mad_u64_u32 v[24:25], s[0:1], s2, v26, 0
	v_mov_b32_e32 v4, v11
	v_mad_u64_u32 v[3:4], s[0:1], s3, v3, v[4:5]
	v_mov_b32_e32 v4, v25
	v_mad_u64_u32 v[25:26], s[0:1], s3, v26, v[4:5]
	v_mov_b32_e32 v11, v3
	v_lshlrev_b64 v[3:4], 2, v[10:11]
	v_add_co_u32_e32 v3, vcc, v1, v3
	v_addc_co_u32_e32 v4, vcc, v2, v4, vcc
	s_waitcnt vmcnt(1)
	v_mul_f16_sdwa v11, v13, v20 dst_sel:DWORD dst_unused:UNUSED_PAD src0_sel:DWORD src1_sel:WORD_1
	v_mul_f16_sdwa v29, v15, v22 dst_sel:DWORD dst_unused:UNUSED_PAD src0_sel:DWORD src1_sel:WORD_1
	s_waitcnt vmcnt(0)
	v_mul_f16_sdwa v32, v9, v8 dst_sel:DWORD dst_unused:UNUSED_PAD src0_sel:DWORD src1_sel:WORD_1
	v_mul_f16_sdwa v33, v5, v8 dst_sel:DWORD dst_unused:UNUSED_PAD src0_sel:DWORD src1_sel:WORD_1
	v_mul_f16_sdwa v10, v19, v20 dst_sel:DWORD dst_unused:UNUSED_PAD src0_sel:DWORD src1_sel:WORD_1
	v_mul_f16_sdwa v26, v18, v21 dst_sel:DWORD dst_unused:UNUSED_PAD src0_sel:DWORD src1_sel:WORD_1
	v_mul_f16_sdwa v27, v14, v21 dst_sel:DWORD dst_unused:UNUSED_PAD src0_sel:DWORD src1_sel:WORD_1
	v_mul_f16_sdwa v28, v17, v22 dst_sel:DWORD dst_unused:UNUSED_PAD src0_sel:DWORD src1_sel:WORD_1
	v_mul_f16_sdwa v30, v6, v23 dst_sel:DWORD dst_unused:UNUSED_PAD src0_sel:DWORD src1_sel:WORD_1
	v_mul_f16_sdwa v31, v0, v23 dst_sel:DWORD dst_unused:UNUSED_PAD src0_sel:DWORD src1_sel:WORD_1
	v_fma_f16 v11, v19, v20, v11
	v_fma_f16 v17, v17, v22, v29
	v_fma_f16 v5, v5, v8, -v32
	v_fma_f16 v8, v9, v8, v33
	v_fma_f16 v10, v13, v20, -v10
	v_fma_f16 v13, v14, v21, -v26
	v_fma_f16 v14, v18, v21, v27
	v_fma_f16 v15, v15, v22, -v28
	v_fma_f16 v0, v0, v23, -v30
	v_fma_f16 v6, v6, v23, v31
	v_sub_f16_e32 v23, v17, v8
	v_add_f16_e32 v26, v11, v17
	v_add_f16_e32 v17, v17, v8
	;; [unrolled: 1-line block ×4, first 2 shown]
	v_sub_f16_e32 v19, v14, v6
	v_add_f16_e32 v20, v16, v14
	v_add_f16_e32 v14, v14, v6
	;; [unrolled: 1-line block ×4, first 2 shown]
	v_sub_f16_e32 v15, v15, v5
	v_fma_f16 v11, v17, -0.5, v11
	v_sub_f16_e32 v13, v13, v0
	v_add_f16_e32 v0, v9, v0
	v_fma_f16 v9, v18, -0.5, v12
	v_add_f16_e32 v6, v20, v6
	v_fma_f16 v12, v14, -0.5, v16
	v_fma_f16 v10, v22, -0.5, v10
	v_add_f16_e32 v8, v26, v8
	v_fma_f16 v17, v15, s5, v11
	v_fma_f16 v11, v15, s4, v11
	v_add_f16_e32 v5, v21, v5
	v_fma_f16 v16, v13, s5, v12
	v_fma_f16 v12, v13, s4, v12
	v_fma_f16 v13, v23, s4, v10
	v_fma_f16 v10, v23, s5, v10
	v_add_f16_e32 v18, v6, v8
	v_sub_f16_e32 v20, v6, v8
	v_mul_f16_e32 v8, -0.5, v11
	v_fma_f16 v14, v19, s4, v9
	v_fma_f16 v9, v19, s5, v9
	v_add_f16_e32 v15, v0, v5
	v_sub_f16_e32 v19, v0, v5
	v_mul_f16_e32 v5, -0.5, v10
	v_mul_f16_e32 v6, 0xbaee, v13
	v_fma_f16 v8, v10, s5, v8
	v_mul_f16_e32 v0, 0x3aee, v17
	v_fma_f16 v5, v11, s4, v5
	v_fma_f16 v6, v17, 0.5, v6
	v_add_f16_e32 v17, v12, v8
	v_sub_f16_e32 v12, v12, v8
	v_add_u32_e32 v8, 0x410, v7
	v_fma_f16 v0, v13, 0.5, v0
	v_add_f16_e32 v11, v9, v5
	v_add_f16_e32 v13, v16, v6
	v_sub_f16_e32 v21, v9, v5
	v_sub_f16_e32 v16, v16, v6
	v_mad_u64_u32 v[5:6], s[0:1], s2, v8, 0
	v_add_f16_e32 v10, v14, v0
	v_sub_f16_e32 v14, v14, v0
	v_pack_b32_f16 v0, v15, v18
	global_store_dword v[3:4], v0, off
	v_mov_b32_e32 v0, v6
	v_mad_u64_u32 v[8:9], s[0:1], s3, v8, v[0:1]
	v_add_u32_e32 v15, 0x5a0, v7
	v_pack_b32_f16 v13, v10, v13
	v_mad_u64_u32 v[9:10], s[0:1], s2, v15, 0
	v_lshlrev_b64 v[3:4], 2, v[24:25]
	v_mov_b32_e32 v6, v8
	v_add_co_u32_e32 v3, vcc, v1, v3
	v_addc_co_u32_e32 v4, vcc, v2, v4, vcc
	v_mov_b32_e32 v0, v10
	global_store_dword v[3:4], v13, off
	v_lshlrev_b64 v[3:4], 2, v[5:6]
	v_mad_u64_u32 v[5:6], s[0:1], s3, v15, v[0:1]
	v_add_u32_e32 v8, 0x730, v7
	v_add_co_u32_e32 v3, vcc, v1, v3
	v_mov_b32_e32 v10, v5
	v_mad_u64_u32 v[5:6], s[0:1], s2, v8, 0
	v_addc_co_u32_e32 v4, vcc, v2, v4, vcc
	v_pack_b32_f16 v0, v11, v17
	global_store_dword v[3:4], v0, off
	v_mov_b32_e32 v0, v6
	v_lshlrev_b64 v[3:4], 2, v[9:10]
	v_mad_u64_u32 v[8:9], s[0:1], s3, v8, v[0:1]
	v_add_u32_e32 v7, 0x8c0, v7
	v_mad_u64_u32 v[9:10], s[0:1], s2, v7, 0
	v_add_co_u32_e32 v3, vcc, v1, v3
	v_addc_co_u32_e32 v4, vcc, v2, v4, vcc
	v_pack_b32_f16 v11, v19, v20
	v_mov_b32_e32 v6, v8
	v_mov_b32_e32 v0, v10
	global_store_dword v[3:4], v11, off
	v_lshlrev_b64 v[3:4], 2, v[5:6]
	v_mad_u64_u32 v[5:6], s[0:1], s3, v7, v[0:1]
	v_add_co_u32_e32 v3, vcc, v1, v3
	v_addc_co_u32_e32 v4, vcc, v2, v4, vcc
	v_pack_b32_f16 v0, v14, v16
	v_mov_b32_e32 v10, v5
	global_store_dword v[3:4], v0, off
	v_lshlrev_b64 v[3:4], 2, v[9:10]
	v_add_co_u32_e32 v0, vcc, v1, v3
	v_addc_co_u32_e32 v1, vcc, v2, v4, vcc
	v_pack_b32_f16 v2, v21, v12
	global_store_dword v[0:1], v2, off
.LBB0_26:
	s_endpgm
	.section	.rodata,"a",@progbits
	.p2align	6, 0x0
	.amdhsa_kernel fft_rtc_fwd_len2400_factors_4_10_10_6_wgs_240_tpt_240_halfLds_half_op_CI_CI_sbrr_dirReg
		.amdhsa_group_segment_fixed_size 0
		.amdhsa_private_segment_fixed_size 0
		.amdhsa_kernarg_size 104
		.amdhsa_user_sgpr_count 6
		.amdhsa_user_sgpr_private_segment_buffer 1
		.amdhsa_user_sgpr_dispatch_ptr 0
		.amdhsa_user_sgpr_queue_ptr 0
		.amdhsa_user_sgpr_kernarg_segment_ptr 1
		.amdhsa_user_sgpr_dispatch_id 0
		.amdhsa_user_sgpr_flat_scratch_init 0
		.amdhsa_user_sgpr_private_segment_size 0
		.amdhsa_uses_dynamic_stack 0
		.amdhsa_system_sgpr_private_segment_wavefront_offset 0
		.amdhsa_system_sgpr_workgroup_id_x 1
		.amdhsa_system_sgpr_workgroup_id_y 0
		.amdhsa_system_sgpr_workgroup_id_z 0
		.amdhsa_system_sgpr_workgroup_info 0
		.amdhsa_system_vgpr_workitem_id 0
		.amdhsa_next_free_vgpr 60
		.amdhsa_next_free_sgpr 32
		.amdhsa_reserve_vcc 1
		.amdhsa_reserve_flat_scratch 0
		.amdhsa_float_round_mode_32 0
		.amdhsa_float_round_mode_16_64 0
		.amdhsa_float_denorm_mode_32 3
		.amdhsa_float_denorm_mode_16_64 3
		.amdhsa_dx10_clamp 1
		.amdhsa_ieee_mode 1
		.amdhsa_fp16_overflow 0
		.amdhsa_exception_fp_ieee_invalid_op 0
		.amdhsa_exception_fp_denorm_src 0
		.amdhsa_exception_fp_ieee_div_zero 0
		.amdhsa_exception_fp_ieee_overflow 0
		.amdhsa_exception_fp_ieee_underflow 0
		.amdhsa_exception_fp_ieee_inexact 0
		.amdhsa_exception_int_div_zero 0
	.end_amdhsa_kernel
	.text
.Lfunc_end0:
	.size	fft_rtc_fwd_len2400_factors_4_10_10_6_wgs_240_tpt_240_halfLds_half_op_CI_CI_sbrr_dirReg, .Lfunc_end0-fft_rtc_fwd_len2400_factors_4_10_10_6_wgs_240_tpt_240_halfLds_half_op_CI_CI_sbrr_dirReg
                                        ; -- End function
	.section	.AMDGPU.csdata,"",@progbits
; Kernel info:
; codeLenInByte = 8116
; NumSgprs: 36
; NumVgprs: 60
; ScratchSize: 0
; MemoryBound: 0
; FloatMode: 240
; IeeeMode: 1
; LDSByteSize: 0 bytes/workgroup (compile time only)
; SGPRBlocks: 4
; VGPRBlocks: 14
; NumSGPRsForWavesPerEU: 36
; NumVGPRsForWavesPerEU: 60
; Occupancy: 4
; WaveLimiterHint : 1
; COMPUTE_PGM_RSRC2:SCRATCH_EN: 0
; COMPUTE_PGM_RSRC2:USER_SGPR: 6
; COMPUTE_PGM_RSRC2:TRAP_HANDLER: 0
; COMPUTE_PGM_RSRC2:TGID_X_EN: 1
; COMPUTE_PGM_RSRC2:TGID_Y_EN: 0
; COMPUTE_PGM_RSRC2:TGID_Z_EN: 0
; COMPUTE_PGM_RSRC2:TIDIG_COMP_CNT: 0
	.type	__hip_cuid_7f47ad7f9049991f,@object ; @__hip_cuid_7f47ad7f9049991f
	.section	.bss,"aw",@nobits
	.globl	__hip_cuid_7f47ad7f9049991f
__hip_cuid_7f47ad7f9049991f:
	.byte	0                               ; 0x0
	.size	__hip_cuid_7f47ad7f9049991f, 1

	.ident	"AMD clang version 19.0.0git (https://github.com/RadeonOpenCompute/llvm-project roc-6.4.0 25133 c7fe45cf4b819c5991fe208aaa96edf142730f1d)"
	.section	".note.GNU-stack","",@progbits
	.addrsig
	.addrsig_sym __hip_cuid_7f47ad7f9049991f
	.amdgpu_metadata
---
amdhsa.kernels:
  - .args:
      - .actual_access:  read_only
        .address_space:  global
        .offset:         0
        .size:           8
        .value_kind:     global_buffer
      - .offset:         8
        .size:           8
        .value_kind:     by_value
      - .actual_access:  read_only
        .address_space:  global
        .offset:         16
        .size:           8
        .value_kind:     global_buffer
      - .actual_access:  read_only
        .address_space:  global
        .offset:         24
        .size:           8
        .value_kind:     global_buffer
      - .actual_access:  read_only
        .address_space:  global
        .offset:         32
        .size:           8
        .value_kind:     global_buffer
      - .offset:         40
        .size:           8
        .value_kind:     by_value
      - .actual_access:  read_only
        .address_space:  global
        .offset:         48
        .size:           8
        .value_kind:     global_buffer
      - .actual_access:  read_only
        .address_space:  global
        .offset:         56
        .size:           8
        .value_kind:     global_buffer
      - .offset:         64
        .size:           4
        .value_kind:     by_value
      - .actual_access:  read_only
        .address_space:  global
        .offset:         72
        .size:           8
        .value_kind:     global_buffer
      - .actual_access:  read_only
        .address_space:  global
        .offset:         80
        .size:           8
        .value_kind:     global_buffer
      - .actual_access:  read_only
        .address_space:  global
        .offset:         88
        .size:           8
        .value_kind:     global_buffer
      - .actual_access:  write_only
        .address_space:  global
        .offset:         96
        .size:           8
        .value_kind:     global_buffer
    .group_segment_fixed_size: 0
    .kernarg_segment_align: 8
    .kernarg_segment_size: 104
    .language:       OpenCL C
    .language_version:
      - 2
      - 0
    .max_flat_workgroup_size: 240
    .name:           fft_rtc_fwd_len2400_factors_4_10_10_6_wgs_240_tpt_240_halfLds_half_op_CI_CI_sbrr_dirReg
    .private_segment_fixed_size: 0
    .sgpr_count:     36
    .sgpr_spill_count: 0
    .symbol:         fft_rtc_fwd_len2400_factors_4_10_10_6_wgs_240_tpt_240_halfLds_half_op_CI_CI_sbrr_dirReg.kd
    .uniform_work_group_size: 1
    .uses_dynamic_stack: false
    .vgpr_count:     60
    .vgpr_spill_count: 0
    .wavefront_size: 64
amdhsa.target:   amdgcn-amd-amdhsa--gfx906
amdhsa.version:
  - 1
  - 2
...

	.end_amdgpu_metadata
